;; amdgpu-corpus repo=ROCm/rocFFT kind=compiled arch=gfx906 opt=O3
	.text
	.amdgcn_target "amdgcn-amd-amdhsa--gfx906"
	.amdhsa_code_object_version 6
	.protected	fft_rtc_fwd_len130_factors_13_10_wgs_52_tpt_13_dp_ip_CI_unitstride_sbrr_R2C_dirReg ; -- Begin function fft_rtc_fwd_len130_factors_13_10_wgs_52_tpt_13_dp_ip_CI_unitstride_sbrr_R2C_dirReg
	.globl	fft_rtc_fwd_len130_factors_13_10_wgs_52_tpt_13_dp_ip_CI_unitstride_sbrr_R2C_dirReg
	.p2align	8
	.type	fft_rtc_fwd_len130_factors_13_10_wgs_52_tpt_13_dp_ip_CI_unitstride_sbrr_R2C_dirReg,@function
fft_rtc_fwd_len130_factors_13_10_wgs_52_tpt_13_dp_ip_CI_unitstride_sbrr_R2C_dirReg: ; @fft_rtc_fwd_len130_factors_13_10_wgs_52_tpt_13_dp_ip_CI_unitstride_sbrr_R2C_dirReg
; %bb.0:
	s_load_dwordx2 s[2:3], s[4:5], 0x50
	s_load_dwordx4 s[8:11], s[4:5], 0x0
	s_load_dwordx2 s[12:13], s[4:5], 0x18
	v_mul_u32_u24_e32 v1, 0x13b2, v0
	v_lshrrev_b32_e32 v9, 16, v1
	v_mov_b32_e32 v3, 0
	s_waitcnt lgkmcnt(0)
	v_cmp_lt_u64_e64 s[0:1], s[10:11], 2
	v_mov_b32_e32 v1, 0
	v_lshl_add_u32 v5, s6, 2, v9
	v_mov_b32_e32 v6, v3
	s_and_b64 vcc, exec, s[0:1]
	v_mov_b32_e32 v2, 0
	s_cbranch_vccnz .LBB0_8
; %bb.1:
	s_load_dwordx2 s[0:1], s[4:5], 0x10
	s_add_u32 s6, s12, 8
	s_addc_u32 s7, s13, 0
	v_mov_b32_e32 v1, 0
	v_mov_b32_e32 v2, 0
	s_waitcnt lgkmcnt(0)
	s_add_u32 s14, s0, 8
	s_addc_u32 s15, s1, 0
	s_mov_b64 s[16:17], 1
.LBB0_2:                                ; =>This Inner Loop Header: Depth=1
	s_load_dwordx2 s[18:19], s[14:15], 0x0
                                        ; implicit-def: $vgpr7_vgpr8
	s_waitcnt lgkmcnt(0)
	v_or_b32_e32 v4, s19, v6
	v_cmp_ne_u64_e32 vcc, 0, v[3:4]
	s_and_saveexec_b64 s[0:1], vcc
	s_xor_b64 s[20:21], exec, s[0:1]
	s_cbranch_execz .LBB0_4
; %bb.3:                                ;   in Loop: Header=BB0_2 Depth=1
	v_cvt_f32_u32_e32 v4, s18
	v_cvt_f32_u32_e32 v7, s19
	s_sub_u32 s0, 0, s18
	s_subb_u32 s1, 0, s19
	v_mac_f32_e32 v4, 0x4f800000, v7
	v_rcp_f32_e32 v4, v4
	v_mul_f32_e32 v4, 0x5f7ffffc, v4
	v_mul_f32_e32 v7, 0x2f800000, v4
	v_trunc_f32_e32 v7, v7
	v_mac_f32_e32 v4, 0xcf800000, v7
	v_cvt_u32_f32_e32 v7, v7
	v_cvt_u32_f32_e32 v4, v4
	v_mul_lo_u32 v8, s0, v7
	v_mul_hi_u32 v10, s0, v4
	v_mul_lo_u32 v12, s1, v4
	v_mul_lo_u32 v11, s0, v4
	v_add_u32_e32 v8, v10, v8
	v_add_u32_e32 v8, v8, v12
	v_mul_hi_u32 v10, v4, v11
	v_mul_lo_u32 v12, v4, v8
	v_mul_hi_u32 v14, v4, v8
	v_mul_hi_u32 v13, v7, v11
	v_mul_lo_u32 v11, v7, v11
	v_mul_hi_u32 v15, v7, v8
	v_add_co_u32_e32 v10, vcc, v10, v12
	v_addc_co_u32_e32 v12, vcc, 0, v14, vcc
	v_mul_lo_u32 v8, v7, v8
	v_add_co_u32_e32 v10, vcc, v10, v11
	v_addc_co_u32_e32 v10, vcc, v12, v13, vcc
	v_addc_co_u32_e32 v11, vcc, 0, v15, vcc
	v_add_co_u32_e32 v8, vcc, v10, v8
	v_addc_co_u32_e32 v10, vcc, 0, v11, vcc
	v_add_co_u32_e32 v4, vcc, v4, v8
	v_addc_co_u32_e32 v7, vcc, v7, v10, vcc
	v_mul_lo_u32 v8, s0, v7
	v_mul_hi_u32 v10, s0, v4
	v_mul_lo_u32 v11, s1, v4
	v_mul_lo_u32 v12, s0, v4
	v_add_u32_e32 v8, v10, v8
	v_add_u32_e32 v8, v8, v11
	v_mul_lo_u32 v13, v4, v8
	v_mul_hi_u32 v14, v4, v12
	v_mul_hi_u32 v15, v4, v8
	;; [unrolled: 1-line block ×3, first 2 shown]
	v_mul_lo_u32 v12, v7, v12
	v_mul_hi_u32 v10, v7, v8
	v_add_co_u32_e32 v13, vcc, v14, v13
	v_addc_co_u32_e32 v14, vcc, 0, v15, vcc
	v_mul_lo_u32 v8, v7, v8
	v_add_co_u32_e32 v12, vcc, v13, v12
	v_addc_co_u32_e32 v11, vcc, v14, v11, vcc
	v_addc_co_u32_e32 v10, vcc, 0, v10, vcc
	v_add_co_u32_e32 v8, vcc, v11, v8
	v_addc_co_u32_e32 v10, vcc, 0, v10, vcc
	v_add_co_u32_e32 v4, vcc, v4, v8
	v_addc_co_u32_e32 v10, vcc, v7, v10, vcc
	v_mad_u64_u32 v[7:8], s[0:1], v5, v10, 0
	v_mul_hi_u32 v11, v5, v4
	v_add_co_u32_e32 v12, vcc, v11, v7
	v_addc_co_u32_e32 v13, vcc, 0, v8, vcc
	v_mad_u64_u32 v[7:8], s[0:1], v6, v4, 0
	v_mad_u64_u32 v[10:11], s[0:1], v6, v10, 0
	v_add_co_u32_e32 v4, vcc, v12, v7
	v_addc_co_u32_e32 v4, vcc, v13, v8, vcc
	v_addc_co_u32_e32 v7, vcc, 0, v11, vcc
	v_add_co_u32_e32 v4, vcc, v4, v10
	v_addc_co_u32_e32 v10, vcc, 0, v7, vcc
	v_mul_lo_u32 v11, s19, v4
	v_mul_lo_u32 v12, s18, v10
	v_mad_u64_u32 v[7:8], s[0:1], s18, v4, 0
	v_add3_u32 v8, v8, v12, v11
	v_sub_u32_e32 v11, v6, v8
	v_mov_b32_e32 v12, s19
	v_sub_co_u32_e32 v7, vcc, v5, v7
	v_subb_co_u32_e64 v11, s[0:1], v11, v12, vcc
	v_subrev_co_u32_e64 v12, s[0:1], s18, v7
	v_subbrev_co_u32_e64 v11, s[0:1], 0, v11, s[0:1]
	v_cmp_le_u32_e64 s[0:1], s19, v11
	v_cndmask_b32_e64 v13, 0, -1, s[0:1]
	v_cmp_le_u32_e64 s[0:1], s18, v12
	v_cndmask_b32_e64 v12, 0, -1, s[0:1]
	v_cmp_eq_u32_e64 s[0:1], s19, v11
	v_cndmask_b32_e64 v11, v13, v12, s[0:1]
	v_add_co_u32_e64 v12, s[0:1], 2, v4
	v_addc_co_u32_e64 v13, s[0:1], 0, v10, s[0:1]
	v_add_co_u32_e64 v14, s[0:1], 1, v4
	v_addc_co_u32_e64 v15, s[0:1], 0, v10, s[0:1]
	v_subb_co_u32_e32 v8, vcc, v6, v8, vcc
	v_cmp_ne_u32_e64 s[0:1], 0, v11
	v_cmp_le_u32_e32 vcc, s19, v8
	v_cndmask_b32_e64 v11, v15, v13, s[0:1]
	v_cndmask_b32_e64 v13, 0, -1, vcc
	v_cmp_le_u32_e32 vcc, s18, v7
	v_cndmask_b32_e64 v7, 0, -1, vcc
	v_cmp_eq_u32_e32 vcc, s19, v8
	v_cndmask_b32_e32 v7, v13, v7, vcc
	v_cmp_ne_u32_e32 vcc, 0, v7
	v_cndmask_b32_e64 v7, v14, v12, s[0:1]
	v_cndmask_b32_e32 v8, v10, v11, vcc
	v_cndmask_b32_e32 v7, v4, v7, vcc
.LBB0_4:                                ;   in Loop: Header=BB0_2 Depth=1
	s_andn2_saveexec_b64 s[0:1], s[20:21]
	s_cbranch_execz .LBB0_6
; %bb.5:                                ;   in Loop: Header=BB0_2 Depth=1
	v_cvt_f32_u32_e32 v4, s18
	s_sub_i32 s20, 0, s18
	v_rcp_iflag_f32_e32 v4, v4
	v_mul_f32_e32 v4, 0x4f7ffffe, v4
	v_cvt_u32_f32_e32 v4, v4
	v_mul_lo_u32 v7, s20, v4
	v_mul_hi_u32 v7, v4, v7
	v_add_u32_e32 v4, v4, v7
	v_mul_hi_u32 v4, v5, v4
	v_mul_lo_u32 v7, v4, s18
	v_add_u32_e32 v8, 1, v4
	v_sub_u32_e32 v7, v5, v7
	v_subrev_u32_e32 v10, s18, v7
	v_cmp_le_u32_e32 vcc, s18, v7
	v_cndmask_b32_e32 v7, v7, v10, vcc
	v_cndmask_b32_e32 v4, v4, v8, vcc
	v_add_u32_e32 v8, 1, v4
	v_cmp_le_u32_e32 vcc, s18, v7
	v_cndmask_b32_e32 v7, v4, v8, vcc
	v_mov_b32_e32 v8, v3
.LBB0_6:                                ;   in Loop: Header=BB0_2 Depth=1
	s_or_b64 exec, exec, s[0:1]
	v_mul_lo_u32 v4, v8, s18
	v_mul_lo_u32 v12, v7, s19
	v_mad_u64_u32 v[10:11], s[0:1], v7, s18, 0
	s_load_dwordx2 s[0:1], s[6:7], 0x0
	s_add_u32 s16, s16, 1
	v_add3_u32 v4, v11, v12, v4
	v_sub_co_u32_e32 v5, vcc, v5, v10
	v_subb_co_u32_e32 v4, vcc, v6, v4, vcc
	s_waitcnt lgkmcnt(0)
	v_mul_lo_u32 v4, s0, v4
	v_mul_lo_u32 v6, s1, v5
	v_mad_u64_u32 v[1:2], s[0:1], s0, v5, v[1:2]
	s_addc_u32 s17, s17, 0
	s_add_u32 s6, s6, 8
	v_add3_u32 v2, v6, v2, v4
	v_mov_b32_e32 v4, s10
	v_mov_b32_e32 v5, s11
	s_addc_u32 s7, s7, 0
	v_cmp_ge_u64_e32 vcc, s[16:17], v[4:5]
	s_add_u32 s14, s14, 8
	s_addc_u32 s15, s15, 0
	s_cbranch_vccnz .LBB0_9
; %bb.7:                                ;   in Loop: Header=BB0_2 Depth=1
	v_mov_b32_e32 v5, v7
	v_mov_b32_e32 v6, v8
	s_branch .LBB0_2
.LBB0_8:
	v_mov_b32_e32 v8, v6
	v_mov_b32_e32 v7, v5
.LBB0_9:
	s_lshl_b64 s[0:1], s[10:11], 3
	s_add_u32 s0, s12, s0
	s_addc_u32 s1, s13, s1
	s_load_dwordx2 s[6:7], s[0:1], 0x0
	s_load_dwordx2 s[10:11], s[4:5], 0x20
	v_and_b32_e32 v5, 3, v9
	s_waitcnt lgkmcnt(0)
	v_mad_u64_u32 v[1:2], s[0:1], s6, v7, v[1:2]
	s_mov_b32 s0, 0x13b13b14
	v_mul_lo_u32 v3, s6, v8
	v_mul_lo_u32 v4, s7, v7
	v_mul_hi_u32 v6, v0, s0
	v_cmp_gt_u64_e32 vcc, s[10:11], v[7:8]
	v_add3_u32 v2, v4, v2, v3
	v_mul_u32_u24_e32 v4, 13, v6
	v_mul_u32_u24_e32 v3, 0x83, v5
	v_sub_u32_e32 v52, v0, v4
	v_lshlrev_b64 v[54:55], 4, v[1:2]
	v_lshlrev_b32_e32 v89, 4, v3
	v_lshlrev_b32_e32 v87, 4, v52
	s_and_saveexec_b64 s[4:5], vcc
	s_cbranch_execz .LBB0_11
; %bb.10:
	v_mov_b32_e32 v53, 0
	v_mov_b32_e32 v0, s3
	v_add_co_u32_e64 v2, s[0:1], s2, v54
	v_addc_co_u32_e64 v3, s[0:1], v0, v55, s[0:1]
	v_lshlrev_b64 v[0:1], 4, v[52:53]
	v_add_co_u32_e64 v40, s[0:1], v2, v0
	v_addc_co_u32_e64 v41, s[0:1], v3, v1, s[0:1]
	global_load_dwordx4 v[0:3], v[40:41], off
	global_load_dwordx4 v[4:7], v[40:41], off offset:208
	global_load_dwordx4 v[8:11], v[40:41], off offset:416
	;; [unrolled: 1-line block ×9, first 2 shown]
	v_add3_u32 v40, 0, v89, v87
	s_waitcnt vmcnt(9)
	ds_write_b128 v40, v[0:3]
	s_waitcnt vmcnt(8)
	ds_write_b128 v40, v[4:7] offset:208
	s_waitcnt vmcnt(7)
	ds_write_b128 v40, v[8:11] offset:416
	s_waitcnt vmcnt(6)
	ds_write_b128 v40, v[12:15] offset:624
	s_waitcnt vmcnt(5)
	ds_write_b128 v40, v[16:19] offset:832
	s_waitcnt vmcnt(4)
	ds_write_b128 v40, v[20:23] offset:1040
	s_waitcnt vmcnt(3)
	ds_write_b128 v40, v[24:27] offset:1248
	s_waitcnt vmcnt(2)
	ds_write_b128 v40, v[28:31] offset:1456
	s_waitcnt vmcnt(1)
	ds_write_b128 v40, v[32:35] offset:1664
	s_waitcnt vmcnt(0)
	ds_write_b128 v40, v[36:39] offset:1872
.LBB0_11:
	s_or_b64 exec, exec, s[4:5]
	v_add_u32_e32 v53, 0, v89
	v_add_u32_e32 v86, v53, v87
	s_waitcnt lgkmcnt(0)
	; wave barrier
	s_waitcnt lgkmcnt(0)
	v_add3_u32 v88, 0, v87, v89
	ds_read_b128 v[0:3], v86
	ds_read_b128 v[32:35], v88 offset:160
	ds_read_b128 v[40:43], v88 offset:320
	;; [unrolled: 1-line block ×12, first 2 shown]
	v_cmp_gt_u32_e64 s[0:1], 10, v52
	s_waitcnt lgkmcnt(0)
	; wave barrier
	s_waitcnt lgkmcnt(0)
	s_and_saveexec_b64 s[4:5], s[0:1]
	s_cbranch_execz .LBB0_13
; %bb.12:
	v_add_f64 v[62:63], v[2:3], v[34:35]
	v_add_f64 v[64:65], v[0:1], v[32:33]
	;; [unrolled: 1-line block ×3, first 2 shown]
	v_add_f64 v[70:71], v[38:39], -v[30:31]
	v_add_f64 v[58:59], v[4:5], -v[8:9]
	v_add_f64 v[56:57], v[4:5], v[8:9]
	s_mov_b32 s0, 0x93053d00
	s_mov_b32 s1, 0xbfef11f4
	v_add_f64 v[66:67], v[62:63], v[42:43]
	v_add_f64 v[74:75], v[64:65], v[40:41]
	v_add_f64 v[64:65], v[36:37], -v[28:29]
	v_add_f64 v[62:63], v[36:37], v[28:29]
	v_add_f64 v[78:79], v[46:47], v[26:27]
	v_add_f64 v[76:77], v[46:47], -v[26:27]
	s_mov_b32 s6, 0xe00740e9
	s_mov_b32 s10, 0x4bc48dbf
	v_add_f64 v[82:83], v[66:67], v[50:51]
	v_add_f64 v[84:85], v[74:75], v[48:49]
	s_mov_b32 s7, 0x3fec55a7
	s_mov_b32 s11, 0x3fcea1e5
	;; [unrolled: 1-line block ×4, first 2 shown]
	v_add_f64 v[68:69], v[44:45], -v[24:25]
	v_add_f64 v[66:67], v[44:45], v[24:25]
	v_add_f64 v[90:91], v[82:83], v[46:47]
	;; [unrolled: 1-line block ×5, first 2 shown]
	v_add_f64 v[82:83], v[32:33], -v[12:13]
	v_add_f64 v[34:35], v[34:35], -v[14:15]
	v_add_f64 v[80:81], v[50:51], v[22:23]
	v_add_f64 v[44:45], v[40:41], -v[16:17]
	v_add_f64 v[38:39], v[90:91], v[38:39]
	v_add_f64 v[36:37], v[92:93], v[36:37]
	v_add_f64 v[42:43], v[42:43], -v[18:19]
	v_add_f64 v[32:33], v[32:33], v[12:13]
	s_mov_b32 s12, 0x4267c47c
	s_mov_b32 s14, 0xd0032e0c
	;; [unrolled: 1-line block ×4, first 2 shown]
	v_add_f64 v[38:39], v[38:39], v[6:7]
	v_add_f64 v[4:5], v[36:37], v[4:5]
	s_mov_b32 s21, 0x3fddbe06
	s_mov_b32 s20, s12
	v_add_f64 v[74:75], v[48:49], -v[20:21]
	v_add_f64 v[50:51], v[50:51], -v[22:23]
	v_add_f64 v[40:41], v[40:41], v[16:17]
	v_mul_f64 v[90:91], v[80:81], s[14:15]
	v_add_f64 v[36:37], v[38:39], v[10:11]
	v_add_f64 v[4:5], v[4:5], v[8:9]
	v_mul_f64 v[8:9], v[84:85], s[0:1]
	s_mov_b32 s16, 0x24c2f84
	s_mov_b32 s22, 0x1ea71119
	;; [unrolled: 1-line block ×5, first 2 shown]
	v_add_f64 v[30:31], v[36:37], v[30:31]
	v_add_f64 v[4:5], v[4:5], v[28:29]
	v_mul_f64 v[28:29], v[34:35], s[18:19]
	v_mul_f64 v[36:37], v[46:47], s[6:7]
	v_fma_f64 v[38:39], v[82:83], s[10:11], v[8:9]
	s_mov_b32 s24, s16
	v_add_f64 v[48:49], v[48:49], v[20:21]
	v_mul_f64 v[94:95], v[50:51], s[24:25]
	v_add_f64 v[26:27], v[30:31], v[26:27]
	v_add_f64 v[4:5], v[4:5], v[24:25]
	v_mul_f64 v[24:25], v[42:43], s[20:21]
	v_fma_f64 v[30:31], v[32:33], s[0:1], v[28:29]
	v_fma_f64 v[92:93], v[44:45], s[12:13], v[36:37]
	v_add_f64 v[38:39], v[2:3], v[38:39]
	v_fma_f64 v[96:97], v[74:75], s[16:17], v[90:91]
	s_mov_b32 s40, 0x42a4c3d2
	v_add_f64 v[22:23], v[26:27], v[22:23]
	v_add_f64 v[4:5], v[4:5], v[20:21]
	v_mul_f64 v[26:27], v[78:79], s[22:23]
	v_fma_f64 v[20:21], v[40:41], s[6:7], v[24:25]
	v_add_f64 v[30:31], v[0:1], v[30:31]
	v_add_f64 v[38:39], v[92:93], v[38:39]
	s_mov_b32 s26, 0xb2365da1
	s_mov_b32 s41, 0xbfea55e2
	;; [unrolled: 1-line block ×5, first 2 shown]
	v_add_f64 v[60:61], v[6:7], v[10:11]
	v_add_f64 v[18:19], v[22:23], v[18:19]
	;; [unrolled: 1-line block ×4, first 2 shown]
	v_fma_f64 v[20:21], v[48:49], s[14:15], v[94:95]
	v_mul_f64 v[22:23], v[76:77], s[30:31]
	v_fma_f64 v[30:31], v[68:69], s[40:41], v[26:27]
	v_add_f64 v[38:39], v[96:97], v[38:39]
	v_mul_f64 v[92:93], v[72:73], s[26:27]
	v_fma_f64 v[8:9], v[82:83], s[18:19], v[8:9]
	s_mov_b32 s28, 0x2ef20147
	s_mov_b32 s36, 0xebaa3ed8
	s_mov_b32 s29, 0x3fedeba7
	s_mov_b32 s35, 0xbfedeba7
	s_mov_b32 s34, s28
	s_mov_b32 s37, 0x3fbedb7d
	v_add_f64 v[16:17], v[20:21], v[16:17]
	v_fma_f64 v[96:97], v[66:67], s[22:23], v[22:23]
	v_mul_f64 v[98:99], v[70:71], s[34:35]
	v_add_f64 v[20:21], v[6:7], -v[10:11]
	v_add_f64 v[6:7], v[18:19], v[14:15]
	v_add_f64 v[4:5], v[4:5], v[12:13]
	;; [unrolled: 1-line block ×3, first 2 shown]
	v_fma_f64 v[12:13], v[64:65], s[28:29], v[92:93]
	v_fma_f64 v[18:19], v[44:45], s[20:21], v[36:37]
	v_fma_f64 v[28:29], v[32:33], s[0:1], -v[28:29]
	v_add_f64 v[8:9], v[2:3], v[8:9]
	v_mul_f64 v[30:31], v[60:61], s[36:37]
	s_mov_b32 s42, 0x66966769
	s_mov_b32 s43, 0xbfefc445
	;; [unrolled: 1-line block ×4, first 2 shown]
	v_add_f64 v[14:15], v[96:97], v[16:17]
	v_fma_f64 v[16:17], v[62:63], s[26:27], v[98:99]
	v_fma_f64 v[24:25], v[40:41], s[6:7], -v[24:25]
	v_add_f64 v[28:29], v[0:1], v[28:29]
	v_mul_f64 v[36:37], v[20:21], s[38:39]
	v_add_f64 v[8:9], v[18:19], v[8:9]
	v_fma_f64 v[18:19], v[74:75], s[24:25], v[90:91]
	v_add_f64 v[10:11], v[12:13], v[10:11]
	v_fma_f64 v[12:13], v[58:59], s[42:43], v[30:31]
	v_mul_f64 v[38:39], v[84:85], s[14:15]
	v_add_f64 v[14:15], v[16:17], v[14:15]
	v_add_f64 v[16:17], v[24:25], v[28:29]
	v_fma_f64 v[24:25], v[48:49], s[14:15], -v[94:95]
	v_fma_f64 v[28:29], v[56:57], s[36:37], v[36:37]
	v_add_f64 v[18:19], v[18:19], v[8:9]
	v_fma_f64 v[26:27], v[68:69], s[30:31], v[26:27]
	v_add_f64 v[10:11], v[12:13], v[10:11]
	v_fma_f64 v[12:13], v[82:83], s[16:17], v[38:39]
	v_mul_f64 v[90:91], v[46:47], s[36:37]
	v_mul_f64 v[94:95], v[34:35], s[24:25]
	v_add_f64 v[16:17], v[24:25], v[16:17]
	v_fma_f64 v[22:23], v[66:67], s[22:23], -v[22:23]
	v_add_f64 v[8:9], v[28:29], v[14:15]
	v_add_f64 v[14:15], v[26:27], v[18:19]
	v_fma_f64 v[18:19], v[64:65], s[34:35], v[92:93]
	v_add_f64 v[12:13], v[2:3], v[12:13]
	v_fma_f64 v[24:25], v[44:45], s[42:43], v[90:91]
	v_fma_f64 v[26:27], v[32:33], s[14:15], v[94:95]
	v_mul_f64 v[28:29], v[42:43], s[38:39]
	v_add_f64 v[16:17], v[22:23], v[16:17]
	v_mul_f64 v[22:23], v[80:81], s[22:23]
	v_fma_f64 v[92:93], v[62:63], s[26:27], -v[98:99]
	v_add_f64 v[14:15], v[18:19], v[14:15]
	v_fma_f64 v[18:19], v[58:59], s[38:39], v[30:31]
	v_add_f64 v[12:13], v[24:25], v[12:13]
	v_add_f64 v[24:25], v[0:1], v[26:27]
	v_fma_f64 v[26:27], v[40:41], s[36:37], v[28:29]
	v_mul_f64 v[30:31], v[50:51], s[40:41]
	v_fma_f64 v[96:97], v[74:75], s[30:31], v[22:23]
	v_add_f64 v[16:17], v[92:93], v[16:17]
	v_mul_f64 v[92:93], v[78:79], s[0:1]
	v_add_f64 v[14:15], v[18:19], v[14:15]
	v_fma_f64 v[36:37], v[56:57], s[36:37], -v[36:37]
	v_fma_f64 v[38:39], v[82:83], s[24:25], v[38:39]
	v_add_f64 v[18:19], v[26:27], v[24:25]
	v_fma_f64 v[24:25], v[48:49], s[22:23], v[30:31]
	v_add_f64 v[26:27], v[96:97], v[12:13]
	v_mul_f64 v[96:97], v[76:77], s[10:11]
	v_fma_f64 v[98:99], v[68:69], s[18:19], v[92:93]
	v_fma_f64 v[90:91], v[44:45], s[38:39], v[90:91]
	v_add_f64 v[12:13], v[36:37], v[16:17]
	v_add_f64 v[38:39], v[2:3], v[38:39]
	v_mul_f64 v[16:17], v[72:73], s[6:7]
	v_add_f64 v[18:19], v[24:25], v[18:19]
	v_fma_f64 v[24:25], v[32:33], s[14:15], -v[94:95]
	v_fma_f64 v[36:37], v[66:67], s[0:1], v[96:97]
	v_mul_f64 v[94:95], v[70:71], s[20:21]
	v_fma_f64 v[28:29], v[40:41], s[36:37], -v[28:29]
	v_add_f64 v[26:27], v[98:99], v[26:27]
	v_add_f64 v[38:39], v[90:91], v[38:39]
	v_fma_f64 v[22:23], v[74:75], s[40:41], v[22:23]
	v_fma_f64 v[90:91], v[64:65], s[12:13], v[16:17]
	v_add_f64 v[24:25], v[0:1], v[24:25]
	v_add_f64 v[18:19], v[36:37], v[18:19]
	v_fma_f64 v[36:37], v[62:63], s[6:7], v[94:95]
	v_mul_f64 v[98:99], v[60:61], s[26:27]
	v_mul_f64 v[100:101], v[20:21], s[34:35]
	;; [unrolled: 1-line block ×3, first 2 shown]
	v_add_f64 v[22:23], v[22:23], v[38:39]
	v_fma_f64 v[38:39], v[68:69], s[10:11], v[92:93]
	v_add_f64 v[24:25], v[28:29], v[24:25]
	v_fma_f64 v[28:29], v[48:49], s[22:23], -v[30:31]
	v_add_f64 v[26:27], v[90:91], v[26:27]
	v_add_f64 v[30:31], v[36:37], v[18:19]
	v_fma_f64 v[18:19], v[58:59], s[28:29], v[98:99]
	v_mul_f64 v[36:37], v[84:85], s[26:27]
	v_fma_f64 v[90:91], v[56:57], s[26:27], v[100:101]
	v_add_f64 v[22:23], v[38:39], v[22:23]
	v_fma_f64 v[38:39], v[64:65], s[20:21], v[16:17]
	v_add_f64 v[24:25], v[28:29], v[24:25]
	v_fma_f64 v[28:29], v[66:67], s[0:1], -v[96:97]
	v_mul_f64 v[92:93], v[34:35], s[34:35]
	v_add_f64 v[18:19], v[18:19], v[26:27]
	v_fma_f64 v[26:27], v[82:83], s[28:29], v[36:37]
	v_mul_f64 v[96:97], v[46:47], s[14:15]
	v_add_f64 v[16:17], v[90:91], v[30:31]
	v_add_f64 v[22:23], v[38:39], v[22:23]
	v_mul_f64 v[38:39], v[42:43], s[16:17]
	v_add_f64 v[24:25], v[28:29], v[24:25]
	v_fma_f64 v[28:29], v[62:63], s[6:7], -v[94:95]
	v_fma_f64 v[30:31], v[32:33], s[26:27], v[92:93]
	v_add_f64 v[26:27], v[2:3], v[26:27]
	v_fma_f64 v[90:91], v[44:45], s[24:25], v[96:97]
	v_mul_f64 v[94:95], v[80:81], s[6:7]
	v_fma_f64 v[98:99], v[58:59], s[34:35], v[98:99]
	v_fma_f64 v[100:101], v[56:57], s[26:27], -v[100:101]
	v_fma_f64 v[102:103], v[40:41], s[14:15], v[38:39]
	v_add_f64 v[28:29], v[28:29], v[24:25]
	v_add_f64 v[30:31], v[0:1], v[30:31]
	v_mul_f64 v[106:107], v[78:79], s[36:37]
	v_add_f64 v[26:27], v[90:91], v[26:27]
	v_fma_f64 v[90:91], v[74:75], s[12:13], v[94:95]
	v_add_f64 v[24:25], v[98:99], v[22:23]
	v_fma_f64 v[98:99], v[48:49], s[6:7], v[104:105]
	v_fma_f64 v[96:97], v[44:45], s[16:17], v[96:97]
	v_add_f64 v[22:23], v[100:101], v[28:29]
	v_fma_f64 v[28:29], v[82:83], s[34:35], v[36:37]
	v_add_f64 v[30:31], v[102:103], v[30:31]
	v_mul_f64 v[102:103], v[76:77], s[42:43]
	v_add_f64 v[26:27], v[90:91], v[26:27]
	v_fma_f64 v[36:37], v[68:69], s[38:39], v[106:107]
	v_fma_f64 v[90:91], v[32:33], s[26:27], -v[92:93]
	v_mul_f64 v[92:93], v[72:73], s[0:1]
	v_mul_f64 v[100:101], v[70:71], s[10:11]
	v_add_f64 v[28:29], v[2:3], v[28:29]
	v_add_f64 v[30:31], v[98:99], v[30:31]
	v_fma_f64 v[98:99], v[66:67], s[36:37], v[102:103]
	v_fma_f64 v[38:39], v[40:41], s[14:15], -v[38:39]
	v_add_f64 v[26:27], v[36:37], v[26:27]
	v_add_f64 v[90:91], v[0:1], v[90:91]
	v_fma_f64 v[36:37], v[64:65], s[18:19], v[92:93]
	v_mul_f64 v[108:109], v[60:61], s[22:23]
	v_add_f64 v[28:29], v[96:97], v[28:29]
	v_fma_f64 v[94:95], v[74:75], s[20:21], v[94:95]
	v_add_f64 v[30:31], v[98:99], v[30:31]
	v_fma_f64 v[96:97], v[62:63], s[0:1], v[100:101]
	v_mul_f64 v[98:99], v[84:85], s[36:37]
	v_add_f64 v[38:39], v[38:39], v[90:91]
	v_fma_f64 v[90:91], v[48:49], s[6:7], -v[104:105]
	v_add_f64 v[26:27], v[36:37], v[26:27]
	v_fma_f64 v[36:37], v[58:59], s[40:41], v[108:109]
	v_mul_f64 v[104:105], v[20:21], s[30:31]
	v_add_f64 v[94:95], v[94:95], v[28:29]
	v_fma_f64 v[106:107], v[68:69], s[42:43], v[106:107]
	v_add_f64 v[30:31], v[96:97], v[30:31]
	v_fma_f64 v[92:93], v[64:65], s[10:11], v[92:93]
	v_add_f64 v[38:39], v[90:91], v[38:39]
	v_fma_f64 v[90:91], v[66:67], s[36:37], -v[102:103]
	v_add_f64 v[28:29], v[36:37], v[26:27]
	v_fma_f64 v[26:27], v[82:83], s[38:39], v[98:99]
	v_mul_f64 v[36:37], v[46:47], s[0:1]
	v_fma_f64 v[96:97], v[56:57], s[22:23], v[104:105]
	v_add_f64 v[94:95], v[106:107], v[94:95]
	v_mul_f64 v[102:103], v[34:35], s[42:43]
	v_fma_f64 v[98:99], v[82:83], s[42:43], v[98:99]
	v_add_f64 v[38:39], v[90:91], v[38:39]
	v_fma_f64 v[90:91], v[62:63], s[0:1], -v[100:101]
	v_add_f64 v[100:101], v[2:3], v[26:27]
	v_fma_f64 v[106:107], v[44:45], s[10:11], v[36:37]
	v_add_f64 v[26:27], v[96:97], v[30:31]
	v_mul_f64 v[30:31], v[80:81], s[26:27]
	v_add_f64 v[92:93], v[92:93], v[94:95]
	v_fma_f64 v[94:95], v[32:33], s[36:37], v[102:103]
	v_mul_f64 v[96:97], v[42:43], s[18:19]
	v_fma_f64 v[102:103], v[32:33], s[36:37], -v[102:103]
	v_add_f64 v[90:91], v[90:91], v[38:39]
	v_fma_f64 v[38:39], v[58:59], s[30:31], v[108:109]
	v_add_f64 v[100:101], v[106:107], v[100:101]
	v_fma_f64 v[106:107], v[74:75], s[34:35], v[30:31]
	v_mul_f64 v[110:111], v[50:51], s[28:29]
	v_add_f64 v[94:95], v[0:1], v[94:95]
	v_fma_f64 v[108:109], v[40:41], s[0:1], v[96:97]
	v_fma_f64 v[36:37], v[44:45], s[18:19], v[36:37]
	v_add_f64 v[98:99], v[2:3], v[98:99]
	v_fma_f64 v[96:97], v[40:41], s[0:1], -v[96:97]
	v_add_f64 v[102:103], v[0:1], v[102:103]
	v_mul_f64 v[112:113], v[78:79], s[6:7]
	v_add_f64 v[100:101], v[106:107], v[100:101]
	v_fma_f64 v[106:107], v[48:49], s[26:27], v[110:111]
	v_add_f64 v[94:95], v[108:109], v[94:95]
	v_mul_f64 v[108:109], v[76:77], s[20:21]
	v_add_f64 v[36:37], v[36:37], v[98:99]
	v_fma_f64 v[30:31], v[74:75], s[28:29], v[30:31]
	v_add_f64 v[96:97], v[96:97], v[102:103]
	v_fma_f64 v[98:99], v[48:49], s[26:27], -v[110:111]
	v_fma_f64 v[114:115], v[68:69], s[12:13], v[112:113]
	v_mul_f64 v[102:103], v[72:73], s[22:23]
	v_add_f64 v[94:95], v[106:107], v[94:95]
	v_fma_f64 v[106:107], v[66:67], s[6:7], v[108:109]
	v_mul_f64 v[110:111], v[70:71], s[40:41]
	v_add_f64 v[30:31], v[30:31], v[36:37]
	v_fma_f64 v[36:37], v[68:69], s[20:21], v[112:113]
	v_add_f64 v[96:97], v[98:99], v[96:97]
	v_fma_f64 v[98:99], v[66:67], s[6:7], -v[108:109]
	v_add_f64 v[100:101], v[114:115], v[100:101]
	v_fma_f64 v[108:109], v[64:65], s[30:31], v[102:103]
	v_add_f64 v[94:95], v[106:107], v[94:95]
	v_fma_f64 v[106:107], v[62:63], s[22:23], v[110:111]
	v_mul_f64 v[112:113], v[60:61], s[14:15]
	v_mul_f64 v[114:115], v[20:21], s[24:25]
	v_add_f64 v[30:31], v[36:37], v[30:31]
	v_fma_f64 v[36:37], v[64:65], s[40:41], v[102:103]
	v_add_f64 v[96:97], v[98:99], v[96:97]
	v_fma_f64 v[98:99], v[62:63], s[22:23], -v[110:111]
	v_fma_f64 v[102:103], v[56:57], s[22:23], -v[104:105]
	v_add_f64 v[38:39], v[38:39], v[92:93]
	v_add_f64 v[92:93], v[108:109], v[100:101]
	;; [unrolled: 1-line block ×3, first 2 shown]
	v_fma_f64 v[104:105], v[56:57], s[14:15], v[114:115]
	v_add_f64 v[30:31], v[36:37], v[30:31]
	v_fma_f64 v[106:107], v[56:57], s[14:15], -v[114:115]
	v_add_f64 v[98:99], v[98:99], v[96:97]
	v_fma_f64 v[96:97], v[58:59], s[24:25], v[112:113]
	v_mul_f64 v[108:109], v[84:85], s[22:23]
	v_fma_f64 v[100:101], v[58:59], s[16:17], v[112:113]
	v_add_f64 v[36:37], v[102:103], v[90:91]
	v_mul_f64 v[84:85], v[84:85], s[6:7]
	v_add_f64 v[90:91], v[104:105], v[94:95]
	v_mul_f64 v[110:111], v[80:81], s[0:1]
	v_add_f64 v[94:95], v[106:107], v[98:99]
	v_add_f64 v[96:97], v[96:97], v[30:31]
	v_fma_f64 v[30:31], v[82:83], s[30:31], v[108:109]
	v_mul_f64 v[98:99], v[46:47], s[26:27]
	v_add_f64 v[92:93], v[100:101], v[92:93]
	v_mul_f64 v[100:101], v[34:35], s[40:41]
	v_fma_f64 v[102:103], v[82:83], s[40:41], v[108:109]
	v_fma_f64 v[104:105], v[82:83], s[20:21], v[84:85]
	;; [unrolled: 1-line block ×3, first 2 shown]
	v_mul_f64 v[34:35], v[34:35], s[12:13]
	v_add_f64 v[30:31], v[2:3], v[30:31]
	v_fma_f64 v[84:85], v[44:45], s[28:29], v[98:99]
	v_mul_f64 v[108:109], v[42:43], s[34:35]
	v_fma_f64 v[106:107], v[32:33], s[22:23], v[100:101]
	v_fma_f64 v[100:101], v[32:33], s[22:23], -v[100:101]
	v_mul_f64 v[120:121], v[72:73], s[36:37]
	v_mul_f64 v[114:115], v[50:51], s[18:19]
	v_fma_f64 v[116:117], v[32:33], s[6:7], v[34:35]
	v_fma_f64 v[32:33], v[32:33], s[6:7], -v[34:35]
	v_add_f64 v[30:31], v[84:85], v[30:31]
	v_fma_f64 v[34:35], v[74:75], s[10:11], v[110:111]
	v_mul_f64 v[84:85], v[78:79], s[14:15]
	v_add_f64 v[106:107], v[0:1], v[106:107]
	v_add_f64 v[102:103], v[2:3], v[102:103]
	;; [unrolled: 1-line block ×4, first 2 shown]
	v_fma_f64 v[98:99], v[44:45], s[34:35], v[98:99]
	v_add_f64 v[0:1], v[0:1], v[32:33]
	v_add_f64 v[30:31], v[34:35], v[30:31]
	v_fma_f64 v[34:35], v[68:69], s[24:25], v[84:85]
	v_fma_f64 v[32:33], v[40:41], s[26:27], -v[108:109]
	v_mul_f64 v[46:47], v[46:47], s[22:23]
	v_add_f64 v[104:105], v[2:3], v[104:105]
	v_add_f64 v[2:3], v[2:3], v[82:83]
	;; [unrolled: 1-line block ×3, first 2 shown]
	v_fma_f64 v[102:103], v[74:75], s[18:19], v[110:111]
	v_mul_f64 v[80:81], v[80:81], s[36:37]
	v_add_f64 v[30:31], v[34:35], v[30:31]
	v_fma_f64 v[34:35], v[64:65], s[42:43], v[120:121]
	v_add_f64 v[32:33], v[32:33], v[100:101]
	v_fma_f64 v[100:101], v[44:45], s[40:41], v[46:47]
	v_mul_f64 v[118:119], v[76:77], s[16:17]
	v_fma_f64 v[84:85], v[68:69], s[16:17], v[84:85]
	v_add_f64 v[98:99], v[102:103], v[98:99]
	v_mul_f64 v[50:51], v[50:51], s[42:43]
	v_mul_f64 v[78:79], v[78:79], s[26:27]
	v_add_f64 v[30:31], v[34:35], v[30:31]
	v_mul_f64 v[34:35], v[42:43], s[40:41]
	v_fma_f64 v[42:43], v[48:49], s[0:1], -v[114:115]
	v_add_f64 v[2:3], v[100:101], v[2:3]
	v_fma_f64 v[112:113], v[40:41], s[26:27], v[108:109]
	v_mul_f64 v[82:83], v[70:71], s[38:39]
	v_fma_f64 v[100:101], v[66:67], s[14:15], -v[118:119]
	v_add_f64 v[84:85], v[84:85], v[98:99]
	v_fma_f64 v[98:99], v[48:49], s[36:37], -v[50:51]
	v_fma_f64 v[102:103], v[40:41], s[22:23], -v[34:35]
	v_add_f64 v[32:33], v[42:43], v[32:33]
	v_fma_f64 v[42:43], v[74:75], s[42:43], v[80:81]
	v_mul_f64 v[76:77], v[76:77], s[34:35]
	v_mul_f64 v[72:73], v[72:73], s[14:15]
	v_fma_f64 v[44:45], v[44:45], s[30:31], v[46:47]
	v_fma_f64 v[34:35], v[40:41], s[22:23], v[34:35]
	v_add_f64 v[106:107], v[112:113], v[106:107]
	v_add_f64 v[0:1], v[102:103], v[0:1]
	v_fma_f64 v[112:113], v[48:49], s[0:1], v[114:115]
	v_add_f64 v[2:3], v[42:43], v[2:3]
	v_fma_f64 v[42:43], v[68:69], s[34:35], v[78:79]
	v_fma_f64 v[108:109], v[62:63], s[36:37], v[82:83]
	v_add_f64 v[32:33], v[100:101], v[32:33]
	v_fma_f64 v[46:47], v[66:67], s[26:27], -v[76:77]
	v_mul_f64 v[70:71], v[70:71], s[24:25]
	v_add_f64 v[0:1], v[98:99], v[0:1]
	v_fma_f64 v[82:83], v[62:63], s[36:37], -v[82:83]
	v_fma_f64 v[40:41], v[64:65], s[24:25], v[72:73]
	v_add_f64 v[2:3], v[42:43], v[2:3]
	v_fma_f64 v[42:43], v[74:75], s[38:39], v[80:81]
	v_add_f64 v[44:45], v[44:45], v[104:105]
	v_fma_f64 v[48:49], v[48:49], s[36:37], v[50:51]
	v_add_f64 v[34:35], v[34:35], v[116:117]
	v_add_f64 v[106:107], v[112:113], v[106:107]
	v_fma_f64 v[112:113], v[66:67], s[14:15], v[118:119]
	v_add_f64 v[0:1], v[46:47], v[0:1]
	v_fma_f64 v[46:47], v[62:63], s[14:15], -v[70:71]
	v_add_f64 v[50:51], v[82:83], v[32:33]
	v_fma_f64 v[32:33], v[68:69], s[28:29], v[78:79]
	v_add_f64 v[42:43], v[42:43], v[44:45]
	v_add_f64 v[40:41], v[40:41], v[2:3]
	v_fma_f64 v[2:3], v[66:67], s[26:27], v[76:77]
	v_add_f64 v[34:35], v[48:49], v[34:35]
	v_mul_f64 v[44:45], v[60:61], s[6:7]
	v_mul_f64 v[48:49], v[60:61], s[0:1]
	;; [unrolled: 1-line block ×3, first 2 shown]
	v_fma_f64 v[102:103], v[64:65], s[38:39], v[120:121]
	v_mul_f64 v[20:21], v[20:21], s[20:21]
	v_add_f64 v[106:107], v[112:113], v[106:107]
	v_add_f64 v[0:1], v[46:47], v[0:1]
	v_fma_f64 v[46:47], v[64:65], s[16:17], v[72:73]
	v_add_f64 v[32:33], v[32:33], v[42:43]
	v_fma_f64 v[42:43], v[62:63], s[14:15], v[70:71]
	;; [unrolled: 2-line block ×3, first 2 shown]
	v_fma_f64 v[44:45], v[58:59], s[20:21], v[44:45]
	v_fma_f64 v[34:35], v[58:59], s[18:19], v[48:49]
	;; [unrolled: 1-line block ×3, first 2 shown]
	v_fma_f64 v[58:59], v[56:57], s[0:1], -v[60:61]
	v_add_f64 v[74:75], v[102:103], v[84:85]
	v_fma_f64 v[64:65], v[56:57], s[6:7], -v[20:21]
	v_add_f64 v[106:107], v[108:109], v[106:107]
	v_fma_f64 v[20:21], v[56:57], s[6:7], v[20:21]
	v_add_f64 v[46:47], v[46:47], v[32:33]
	v_fma_f64 v[56:57], v[56:57], s[0:1], v[60:61]
	v_add_f64 v[60:61], v[42:43], v[2:3]
	v_add_f64 v[42:43], v[34:35], v[40:41]
	;; [unrolled: 1-line block ×7, first 2 shown]
	v_mul_u32_u24_e32 v20, 0xd0, v52
	v_add3_u32 v20, 0, v20, v89
	v_add_f64 v[46:47], v[48:49], v[46:47]
	v_add_f64 v[44:45], v[56:57], v[60:61]
	ds_write_b128 v20, v[4:7]
	ds_write_b128 v20, v[40:43] offset:16
	ds_write_b128 v20, v[30:33] offset:32
	;; [unrolled: 1-line block ×12, first 2 shown]
.LBB0_13:
	s_or_b64 exec, exec, s[4:5]
	v_mul_u32_u24_e32 v0, 9, v52
	v_lshlrev_b32_e32 v36, 4, v0
	s_waitcnt lgkmcnt(0)
	; wave barrier
	s_waitcnt lgkmcnt(0)
	global_load_dwordx4 v[0:3], v36, s[8:9]
	global_load_dwordx4 v[4:7], v36, s[8:9] offset:16
	global_load_dwordx4 v[8:11], v36, s[8:9] offset:32
	;; [unrolled: 1-line block ×8, first 2 shown]
	ds_read_b128 v[36:39], v86
	ds_read_b128 v[40:43], v88 offset:208
	ds_read_b128 v[44:47], v88 offset:416
	;; [unrolled: 1-line block ×9, first 2 shown]
	s_mov_b32 s0, 0x134454ff
	s_mov_b32 s1, 0x3fee6f0e
	s_mov_b32 s11, 0xbfee6f0e
	s_mov_b32 s10, s0
	s_mov_b32 s4, 0x4755a5e
	s_mov_b32 s5, 0x3fe2cf23
	s_mov_b32 s13, 0xbfe2cf23
	s_mov_b32 s12, s4
	s_mov_b32 s6, 0x372fe950
	s_mov_b32 s7, 0x3fd3c6ef
	s_mov_b32 s14, 0x9b97f4a8
	s_mov_b32 s15, 0x3fe9e377
	s_waitcnt lgkmcnt(0)
	; wave barrier
	s_waitcnt vmcnt(8) lgkmcnt(0)
	v_mul_f64 v[80:81], v[42:43], v[2:3]
	v_mul_f64 v[2:3], v[40:41], v[2:3]
	s_waitcnt vmcnt(7)
	v_mul_f64 v[82:83], v[46:47], v[6:7]
	v_mul_f64 v[6:7], v[44:45], v[6:7]
	s_waitcnt vmcnt(6)
	;; [unrolled: 3-line block ×8, first 2 shown]
	v_mul_f64 v[99:100], v[78:79], v[34:35]
	v_mul_f64 v[34:35], v[76:77], v[34:35]
	v_fma_f64 v[40:41], v[40:41], v[0:1], -v[80:81]
	v_fma_f64 v[0:1], v[42:43], v[0:1], v[2:3]
	v_fma_f64 v[2:3], v[44:45], v[4:5], -v[82:83]
	v_fma_f64 v[4:5], v[46:47], v[4:5], v[6:7]
	;; [unrolled: 2-line block ×6, first 2 shown]
	v_fma_f64 v[22:23], v[74:75], v[28:29], v[30:31]
	v_fma_f64 v[30:31], v[68:69], v[24:25], -v[95:96]
	v_fma_f64 v[24:25], v[70:71], v[24:25], v[26:27]
	v_fma_f64 v[26:27], v[72:73], v[28:29], -v[97:98]
	v_fma_f64 v[28:29], v[76:77], v[32:33], -v[99:100]
	v_fma_f64 v[32:33], v[78:79], v[32:33], v[34:35]
	v_add_f64 v[34:35], v[36:37], v[2:3]
	v_add_f64 v[42:43], v[10:11], v[18:19]
	v_add_f64 v[48:49], v[2:3], -v[10:11]
	v_add_f64 v[62:63], v[38:39], v[4:5]
	v_add_f64 v[64:65], v[12:13], v[20:21]
	v_add_f64 v[50:51], v[26:27], -v[18:19]
	v_add_f64 v[56:57], v[2:3], v[26:27]
	v_add_f64 v[44:45], v[4:5], -v[22:23]
	v_add_f64 v[46:47], v[12:13], -v[20:21]
	;; [unrolled: 1-line block ×7, first 2 shown]
	v_add_f64 v[72:73], v[4:5], v[22:23]
	v_add_f64 v[4:5], v[12:13], -v[4:5]
	v_add_f64 v[78:79], v[14:15], v[30:31]
	v_add_f64 v[10:11], v[34:35], v[10:11]
	v_fma_f64 v[34:35], v[42:43], -0.5, v[36:37]
	v_add_f64 v[42:43], v[48:49], v[50:51]
	v_fma_f64 v[36:37], v[56:57], -0.5, v[36:37]
	v_add_f64 v[12:13], v[62:63], v[12:13]
	v_fma_f64 v[50:51], v[64:65], -0.5, v[38:39]
	v_add_f64 v[70:71], v[22:23], -v[20:21]
	v_add_f64 v[74:75], v[20:21], -v[22:23]
	v_add_f64 v[76:77], v[40:41], v[6:7]
	v_add_f64 v[80:81], v[8:9], -v[32:33]
	v_add_f64 v[48:49], v[58:59], v[60:61]
	v_fma_f64 v[38:39], v[72:73], -0.5, v[38:39]
	v_fma_f64 v[60:61], v[78:79], -0.5, v[40:41]
	v_add_f64 v[10:11], v[10:11], v[18:19]
	v_fma_f64 v[18:19], v[44:45], s[0:1], v[34:35]
	v_fma_f64 v[34:35], v[44:45], s[10:11], v[34:35]
	;; [unrolled: 1-line block ×4, first 2 shown]
	v_add_f64 v[12:13], v[12:13], v[20:21]
	v_fma_f64 v[20:21], v[2:3], s[10:11], v[50:51]
	v_add_f64 v[82:83], v[16:17], -v[24:25]
	v_add_f64 v[84:85], v[6:7], -v[14:15]
	v_add_f64 v[89:90], v[28:29], -v[30:31]
	v_add_f64 v[91:92], v[6:7], v[28:29]
	v_add_f64 v[56:57], v[68:69], v[70:71]
	;; [unrolled: 1-line block ×3, first 2 shown]
	v_fma_f64 v[50:51], v[2:3], s[0:1], v[50:51]
	v_fma_f64 v[64:65], v[66:67], s[0:1], v[38:39]
	;; [unrolled: 1-line block ×4, first 2 shown]
	v_add_f64 v[26:27], v[10:11], v[26:27]
	v_fma_f64 v[10:11], v[46:47], s[4:5], v[18:19]
	v_fma_f64 v[18:19], v[46:47], s[12:13], v[34:35]
	;; [unrolled: 1-line block ×5, first 2 shown]
	v_add_f64 v[4:5], v[4:5], v[74:75]
	v_fma_f64 v[44:45], v[66:67], s[4:5], v[50:51]
	v_add_f64 v[22:23], v[12:13], v[22:23]
	v_fma_f64 v[12:13], v[2:3], s[12:13], v[64:65]
	v_fma_f64 v[46:47], v[42:43], s[6:7], v[10:11]
	;; [unrolled: 1-line block ×6, first 2 shown]
	v_fma_f64 v[10:11], v[91:92], -0.5, v[40:41]
	v_fma_f64 v[2:3], v[2:3], s[4:5], v[38:39]
	v_add_f64 v[18:19], v[58:59], v[30:31]
	v_fma_f64 v[20:21], v[82:83], s[4:5], v[68:69]
	v_add_f64 v[38:39], v[84:85], v[89:90]
	v_add_f64 v[40:41], v[16:17], v[24:25]
	v_fma_f64 v[44:45], v[56:57], s[6:7], v[44:45]
	v_fma_f64 v[50:51], v[4:5], s[6:7], v[12:13]
	;; [unrolled: 1-line block ×5, first 2 shown]
	v_add_f64 v[60:61], v[18:19], v[28:29]
	v_add_f64 v[2:3], v[8:9], v[32:33]
	v_fma_f64 v[4:5], v[38:39], s[6:7], v[20:21]
	v_fma_f64 v[18:19], v[40:41], -0.5, v[0:1]
	v_add_f64 v[20:21], v[6:7], -v[28:29]
	v_add_f64 v[62:63], v[14:15], -v[30:31]
	v_fma_f64 v[40:41], v[80:81], s[4:5], v[56:57]
	v_add_f64 v[56:57], v[0:1], v[8:9]
	v_fma_f64 v[10:11], v[82:83], s[0:1], v[10:11]
	v_fma_f64 v[0:1], v[2:3], -0.5, v[0:1]
	v_add_f64 v[2:3], v[14:15], -v[6:7]
	v_add_f64 v[6:7], v[30:31], -v[28:29]
	v_fma_f64 v[14:15], v[20:21], s[10:11], v[18:19]
	v_add_f64 v[28:29], v[8:9], -v[16:17]
	v_add_f64 v[30:31], v[32:33], -v[24:25]
	v_add_f64 v[56:57], v[56:57], v[16:17]
	v_add_f64 v[8:9], v[16:17], -v[8:9]
	v_add_f64 v[16:17], v[24:25], -v[32:33]
	v_fma_f64 v[64:65], v[62:63], s[0:1], v[0:1]
	v_fma_f64 v[0:1], v[62:63], s[10:11], v[0:1]
	;; [unrolled: 1-line block ×4, first 2 shown]
	v_add_f64 v[28:29], v[28:29], v[30:31]
	v_add_f64 v[2:3], v[2:3], v[6:7]
	v_fma_f64 v[6:7], v[80:81], s[12:13], v[10:11]
	v_add_f64 v[8:9], v[8:9], v[16:17]
	v_add_f64 v[16:17], v[56:57], v[24:25]
	v_fma_f64 v[10:11], v[20:21], s[12:13], v[64:65]
	v_fma_f64 v[0:1], v[20:21], s[4:5], v[0:1]
	;; [unrolled: 1-line block ×7, first 2 shown]
	v_add_f64 v[30:31], v[16:17], v[32:33]
	v_fma_f64 v[6:7], v[8:9], s[6:7], v[10:11]
	v_fma_f64 v[8:9], v[8:9], s[6:7], v[0:1]
	;; [unrolled: 1-line block ×3, first 2 shown]
	v_mul_f64 v[16:17], v[14:15], s[4:5]
	v_fma_f64 v[10:11], v[28:29], s[6:7], v[18:19]
	v_mul_f64 v[38:39], v[20:21], s[10:11]
	v_mul_f64 v[24:25], v[2:3], s[6:7]
	v_add_f64 v[0:1], v[26:27], v[60:61]
	v_mul_f64 v[18:19], v[6:7], s[0:1]
	v_mul_f64 v[40:41], v[8:9], s[6:7]
	;; [unrolled: 1-line block ×3, first 2 shown]
	v_fma_f64 v[32:33], v[4:5], s[14:15], v[16:17]
	v_mul_f64 v[16:17], v[4:5], s[12:13]
	v_mul_f64 v[56:57], v[10:11], s[14:15]
	v_fma_f64 v[38:39], v[6:7], s[6:7], v[38:39]
	v_fma_f64 v[64:65], v[8:9], s[0:1], -v[24:25]
	v_fma_f64 v[62:63], v[20:21], s[6:7], v[18:19]
	v_fma_f64 v[40:41], v[2:3], s[10:11], -v[40:41]
	v_fma_f64 v[66:67], v[10:11], s[4:5], -v[28:29]
	v_add_f64 v[2:3], v[22:23], v[30:31]
	v_fma_f64 v[68:69], v[14:15], s[14:15], v[16:17]
	v_fma_f64 v[56:57], v[12:13], s[12:13], -v[56:57]
	v_add_f64 v[4:5], v[46:47], v[32:33]
	v_add_f64 v[10:11], v[50:51], v[38:39]
	v_add_f64 v[8:9], v[34:35], v[62:63]
	v_add_f64 v[12:13], v[36:37], v[64:65]
	v_add_f64 v[14:15], v[58:59], v[40:41]
	v_add_f64 v[16:17], v[42:43], v[66:67]
	v_add_f64 v[6:7], v[48:49], v[68:69]
	v_add_f64 v[18:19], v[44:45], v[56:57]
	v_add_f64 v[20:21], v[26:27], -v[60:61]
	v_add_f64 v[22:23], v[22:23], -v[30:31]
	v_add_f64 v[24:25], v[46:47], -v[32:33]
	v_add_f64 v[26:27], v[48:49], -v[68:69]
	v_add_f64 v[28:29], v[34:35], -v[62:63]
	v_add_f64 v[30:31], v[50:51], -v[38:39]
	v_add_f64 v[32:33], v[36:37], -v[64:65]
	v_add_f64 v[36:37], v[42:43], -v[66:67]
	v_add_f64 v[34:35], v[58:59], -v[40:41]
	v_add_f64 v[38:39], v[44:45], -v[56:57]
	ds_write_b128 v88, v[0:3]
	ds_write_b128 v88, v[4:7] offset:208
	ds_write_b128 v88, v[8:11] offset:416
	;; [unrolled: 1-line block ×9, first 2 shown]
	s_waitcnt lgkmcnt(0)
	; wave barrier
	s_waitcnt lgkmcnt(0)
	ds_read_b128 v[0:3], v86
	v_sub_u32_e32 v10, v53, v87
	v_cmp_ne_u32_e64 s[0:1], 0, v52
                                        ; implicit-def: $vgpr6_vgpr7
                                        ; implicit-def: $vgpr4_vgpr5
                                        ; implicit-def: $vgpr8_vgpr9
	s_and_saveexec_b64 s[4:5], s[0:1]
	s_xor_b64 s[4:5], exec, s[4:5]
	s_cbranch_execz .LBB0_15
; %bb.14:
	v_mov_b32_e32 v53, 0
	v_lshlrev_b64 v[4:5], 4, v[52:53]
	v_mov_b32_e32 v6, s9
	v_add_co_u32_e64 v4, s[0:1], s8, v4
	v_addc_co_u32_e64 v5, s[0:1], v6, v5, s[0:1]
	global_load_dwordx4 v[6:9], v[4:5], off offset:1872
	ds_read_b128 v[11:14], v10 offset:2080
	s_waitcnt lgkmcnt(0)
	v_add_f64 v[4:5], v[0:1], -v[11:12]
	v_add_f64 v[15:16], v[2:3], v[13:14]
	v_add_f64 v[2:3], v[2:3], -v[13:14]
	v_add_f64 v[0:1], v[0:1], v[11:12]
	v_mul_f64 v[4:5], v[4:5], 0.5
	v_mul_f64 v[13:14], v[15:16], 0.5
	;; [unrolled: 1-line block ×3, first 2 shown]
	s_waitcnt vmcnt(0)
	v_mul_f64 v[11:12], v[4:5], v[8:9]
	v_fma_f64 v[15:16], v[13:14], v[8:9], v[2:3]
	v_fma_f64 v[2:3], v[13:14], v[8:9], -v[2:3]
	v_fma_f64 v[8:9], v[0:1], 0.5, v[11:12]
	v_fma_f64 v[0:1], v[0:1], 0.5, -v[11:12]
	v_fma_f64 v[11:12], -v[6:7], v[4:5], v[15:16]
	v_fma_f64 v[2:3], -v[6:7], v[4:5], v[2:3]
	ds_write_b64 v86, v[11:12] offset:8
	ds_write_b64 v10, v[2:3] offset:2088
	v_fma_f64 v[4:5], v[13:14], v[6:7], v[8:9]
	v_mov_b32_e32 v8, v52
	v_fma_f64 v[6:7], -v[13:14], v[6:7], v[0:1]
	v_mov_b32_e32 v9, v53
                                        ; implicit-def: $vgpr0_vgpr1
                                        ; implicit-def: $vgpr53
.LBB0_15:
	s_andn2_saveexec_b64 s[0:1], s[4:5]
	s_cbranch_execz .LBB0_17
; %bb.16:
	s_mov_b32 s4, 0
	s_mov_b32 s5, s4
	v_mov_b32_e32 v9, s5
	s_waitcnt lgkmcnt(0)
	v_add_f64 v[4:5], v[0:1], v[2:3]
	v_mov_b32_e32 v8, s4
	v_add_f64 v[6:7], v[0:1], -v[2:3]
	ds_write_b64 v86, v[8:9] offset:8
	ds_write_b64 v10, v[8:9] offset:2088
	ds_read_b64 v[0:1], v53 offset:1048
	v_mov_b32_e32 v8, 0
	v_mov_b32_e32 v9, 0
	s_waitcnt lgkmcnt(0)
	v_xor_b32_e32 v1, 0x80000000, v1
	ds_write_b64 v53, v[0:1] offset:1048
.LBB0_17:
	s_or_b64 exec, exec, s[0:1]
	s_add_u32 s0, s8, 0x750
	s_waitcnt lgkmcnt(0)
	v_lshlrev_b64 v[0:1], 4, v[8:9]
	s_addc_u32 s1, s9, 0
	v_mov_b32_e32 v2, s1
	v_add_co_u32_e64 v19, s[0:1], s0, v0
	v_addc_co_u32_e64 v20, s[0:1], v2, v1, s[0:1]
	global_load_dwordx4 v[11:14], v[19:20], off offset:208
	global_load_dwordx4 v[15:18], v[19:20], off offset:416
	ds_write_b64 v86, v[4:5]
	ds_write_b64 v10, v[6:7] offset:2080
	ds_read_b128 v[2:5], v86 offset:208
	ds_read_b128 v[6:9], v10 offset:1872
	s_waitcnt lgkmcnt(0)
	v_add_f64 v[21:22], v[2:3], -v[6:7]
	v_add_f64 v[23:24], v[4:5], v[8:9]
	v_add_f64 v[4:5], v[4:5], -v[8:9]
	v_add_f64 v[2:3], v[2:3], v[6:7]
	v_mul_f64 v[8:9], v[21:22], 0.5
	v_mul_f64 v[21:22], v[23:24], 0.5
	;; [unrolled: 1-line block ×3, first 2 shown]
	s_waitcnt vmcnt(1)
	v_mul_f64 v[6:7], v[8:9], v[13:14]
	v_fma_f64 v[23:24], v[21:22], v[13:14], v[4:5]
	v_fma_f64 v[13:14], v[21:22], v[13:14], -v[4:5]
	v_fma_f64 v[25:26], v[2:3], 0.5, v[6:7]
	v_fma_f64 v[6:7], v[2:3], 0.5, -v[6:7]
	global_load_dwordx4 v[2:5], v[19:20], off offset:624
	v_fma_f64 v[23:24], -v[11:12], v[8:9], v[23:24]
	v_fma_f64 v[8:9], -v[11:12], v[8:9], v[13:14]
	v_fma_f64 v[13:14], v[21:22], v[11:12], v[25:26]
	v_fma_f64 v[6:7], -v[21:22], v[11:12], v[6:7]
	ds_write2_b64 v86, v[13:14], v[23:24] offset0:26 offset1:27
	ds_write_b128 v10, v[6:9] offset:1872
	ds_read_b128 v[6:9], v86 offset:416
	ds_read_b128 v[11:14], v10 offset:1664
	s_waitcnt lgkmcnt(0)
	v_add_f64 v[21:22], v[6:7], -v[11:12]
	v_add_f64 v[23:24], v[8:9], v[13:14]
	v_add_f64 v[8:9], v[8:9], -v[13:14]
	v_add_f64 v[6:7], v[6:7], v[11:12]
	v_mul_f64 v[13:14], v[21:22], 0.5
	v_mul_f64 v[21:22], v[23:24], 0.5
	;; [unrolled: 1-line block ×3, first 2 shown]
	s_waitcnt vmcnt(1)
	v_mul_f64 v[11:12], v[13:14], v[17:18]
	v_fma_f64 v[23:24], v[21:22], v[17:18], v[8:9]
	v_fma_f64 v[17:18], v[21:22], v[17:18], -v[8:9]
	v_fma_f64 v[25:26], v[6:7], 0.5, v[11:12]
	v_fma_f64 v[11:12], v[6:7], 0.5, -v[11:12]
	global_load_dwordx4 v[6:9], v[19:20], off offset:832
	v_fma_f64 v[19:20], -v[15:16], v[13:14], v[23:24]
	v_fma_f64 v[13:14], -v[15:16], v[13:14], v[17:18]
	v_fma_f64 v[17:18], v[21:22], v[15:16], v[25:26]
	v_fma_f64 v[11:12], -v[21:22], v[15:16], v[11:12]
	ds_write2_b64 v86, v[17:18], v[19:20] offset0:52 offset1:53
	ds_write_b128 v10, v[11:14] offset:1664
	ds_read_b128 v[11:14], v86 offset:624
	ds_read_b128 v[15:18], v10 offset:1456
	s_waitcnt lgkmcnt(0)
	v_add_f64 v[19:20], v[11:12], -v[15:16]
	v_add_f64 v[21:22], v[13:14], v[17:18]
	v_add_f64 v[13:14], v[13:14], -v[17:18]
	v_add_f64 v[11:12], v[11:12], v[15:16]
	v_mul_f64 v[17:18], v[19:20], 0.5
	v_mul_f64 v[19:20], v[21:22], 0.5
	v_mul_f64 v[13:14], v[13:14], 0.5
	s_waitcnt vmcnt(1)
	v_mul_f64 v[15:16], v[17:18], v[4:5]
	v_fma_f64 v[21:22], v[19:20], v[4:5], v[13:14]
	v_fma_f64 v[4:5], v[19:20], v[4:5], -v[13:14]
	v_fma_f64 v[13:14], v[11:12], 0.5, v[15:16]
	v_fma_f64 v[11:12], v[11:12], 0.5, -v[15:16]
	v_fma_f64 v[15:16], -v[2:3], v[17:18], v[21:22]
	v_fma_f64 v[4:5], -v[2:3], v[17:18], v[4:5]
	v_fma_f64 v[13:14], v[19:20], v[2:3], v[13:14]
	v_fma_f64 v[2:3], -v[19:20], v[2:3], v[11:12]
	ds_write2_b64 v86, v[13:14], v[15:16] offset0:78 offset1:79
	ds_write_b128 v10, v[2:5] offset:1456
	ds_read_b128 v[2:5], v86 offset:832
	ds_read_b128 v[11:14], v10 offset:1248
	s_waitcnt lgkmcnt(0)
	v_add_f64 v[15:16], v[2:3], -v[11:12]
	v_add_f64 v[17:18], v[4:5], v[13:14]
	v_add_f64 v[4:5], v[4:5], -v[13:14]
	v_add_f64 v[2:3], v[2:3], v[11:12]
	v_mul_f64 v[13:14], v[15:16], 0.5
	v_mul_f64 v[15:16], v[17:18], 0.5
	v_mul_f64 v[4:5], v[4:5], 0.5
	s_waitcnt vmcnt(0)
	v_mul_f64 v[11:12], v[13:14], v[8:9]
	v_fma_f64 v[17:18], v[15:16], v[8:9], v[4:5]
	v_fma_f64 v[4:5], v[15:16], v[8:9], -v[4:5]
	v_fma_f64 v[8:9], v[2:3], 0.5, v[11:12]
	v_fma_f64 v[2:3], v[2:3], 0.5, -v[11:12]
	v_fma_f64 v[11:12], -v[6:7], v[13:14], v[17:18]
	v_fma_f64 v[4:5], -v[6:7], v[13:14], v[4:5]
	v_fma_f64 v[8:9], v[15:16], v[6:7], v[8:9]
	v_fma_f64 v[2:3], -v[15:16], v[6:7], v[2:3]
	ds_write2_b64 v86, v[8:9], v[11:12] offset0:104 offset1:105
	ds_write_b128 v10, v[2:5] offset:1248
	s_waitcnt lgkmcnt(0)
	; wave barrier
	s_waitcnt lgkmcnt(0)
	s_and_saveexec_b64 s[0:1], vcc
	s_cbranch_execz .LBB0_20
; %bb.18:
	ds_read_b128 v[4:7], v86
	v_mov_b32_e32 v3, s3
	v_add_co_u32_e32 v2, vcc, s2, v54
	v_addc_co_u32_e32 v3, vcc, v3, v55, vcc
	v_add_co_u32_e32 v0, vcc, v2, v0
	v_addc_co_u32_e32 v1, vcc, v3, v1, vcc
	ds_read_b128 v[8:11], v86 offset:208
	ds_read_b128 v[12:15], v86 offset:416
	;; [unrolled: 1-line block ×3, first 2 shown]
	s_waitcnt lgkmcnt(3)
	global_store_dwordx4 v[0:1], v[4:7], off
	ds_read_b128 v[4:7], v86 offset:832
	s_waitcnt lgkmcnt(3)
	global_store_dwordx4 v[0:1], v[8:11], off offset:208
	s_waitcnt lgkmcnt(2)
	global_store_dwordx4 v[0:1], v[12:15], off offset:416
	;; [unrolled: 2-line block ×3, first 2 shown]
	ds_read_b128 v[8:11], v86 offset:1040
	s_waitcnt lgkmcnt(1)
	global_store_dwordx4 v[0:1], v[4:7], off offset:832
	ds_read_b128 v[4:7], v86 offset:1248
	ds_read_b128 v[12:15], v86 offset:1456
	ds_read_b128 v[16:19], v86 offset:1664
	ds_read_b128 v[20:23], v86 offset:1872
	v_cmp_eq_u32_e32 vcc, 12, v52
	s_waitcnt lgkmcnt(4)
	global_store_dwordx4 v[0:1], v[8:11], off offset:1040
	s_waitcnt lgkmcnt(3)
	global_store_dwordx4 v[0:1], v[4:7], off offset:1248
	;; [unrolled: 2-line block ×5, first 2 shown]
	s_and_b64 exec, exec, vcc
	s_cbranch_execz .LBB0_20
; %bb.19:
	ds_read_b128 v[4:7], v86 offset:1888
	s_waitcnt lgkmcnt(0)
	global_store_dwordx4 v[2:3], v[4:7], off offset:2080
.LBB0_20:
	s_endpgm
	.section	.rodata,"a",@progbits
	.p2align	6, 0x0
	.amdhsa_kernel fft_rtc_fwd_len130_factors_13_10_wgs_52_tpt_13_dp_ip_CI_unitstride_sbrr_R2C_dirReg
		.amdhsa_group_segment_fixed_size 0
		.amdhsa_private_segment_fixed_size 0
		.amdhsa_kernarg_size 88
		.amdhsa_user_sgpr_count 6
		.amdhsa_user_sgpr_private_segment_buffer 1
		.amdhsa_user_sgpr_dispatch_ptr 0
		.amdhsa_user_sgpr_queue_ptr 0
		.amdhsa_user_sgpr_kernarg_segment_ptr 1
		.amdhsa_user_sgpr_dispatch_id 0
		.amdhsa_user_sgpr_flat_scratch_init 0
		.amdhsa_user_sgpr_private_segment_size 0
		.amdhsa_uses_dynamic_stack 0
		.amdhsa_system_sgpr_private_segment_wavefront_offset 0
		.amdhsa_system_sgpr_workgroup_id_x 1
		.amdhsa_system_sgpr_workgroup_id_y 0
		.amdhsa_system_sgpr_workgroup_id_z 0
		.amdhsa_system_sgpr_workgroup_info 0
		.amdhsa_system_vgpr_workitem_id 0
		.amdhsa_next_free_vgpr 122
		.amdhsa_next_free_sgpr 44
		.amdhsa_reserve_vcc 1
		.amdhsa_reserve_flat_scratch 0
		.amdhsa_float_round_mode_32 0
		.amdhsa_float_round_mode_16_64 0
		.amdhsa_float_denorm_mode_32 3
		.amdhsa_float_denorm_mode_16_64 3
		.amdhsa_dx10_clamp 1
		.amdhsa_ieee_mode 1
		.amdhsa_fp16_overflow 0
		.amdhsa_exception_fp_ieee_invalid_op 0
		.amdhsa_exception_fp_denorm_src 0
		.amdhsa_exception_fp_ieee_div_zero 0
		.amdhsa_exception_fp_ieee_overflow 0
		.amdhsa_exception_fp_ieee_underflow 0
		.amdhsa_exception_fp_ieee_inexact 0
		.amdhsa_exception_int_div_zero 0
	.end_amdhsa_kernel
	.text
.Lfunc_end0:
	.size	fft_rtc_fwd_len130_factors_13_10_wgs_52_tpt_13_dp_ip_CI_unitstride_sbrr_R2C_dirReg, .Lfunc_end0-fft_rtc_fwd_len130_factors_13_10_wgs_52_tpt_13_dp_ip_CI_unitstride_sbrr_R2C_dirReg
                                        ; -- End function
	.section	.AMDGPU.csdata,"",@progbits
; Kernel info:
; codeLenInByte = 8440
; NumSgprs: 48
; NumVgprs: 122
; ScratchSize: 0
; MemoryBound: 0
; FloatMode: 240
; IeeeMode: 1
; LDSByteSize: 0 bytes/workgroup (compile time only)
; SGPRBlocks: 5
; VGPRBlocks: 30
; NumSGPRsForWavesPerEU: 48
; NumVGPRsForWavesPerEU: 122
; Occupancy: 2
; WaveLimiterHint : 1
; COMPUTE_PGM_RSRC2:SCRATCH_EN: 0
; COMPUTE_PGM_RSRC2:USER_SGPR: 6
; COMPUTE_PGM_RSRC2:TRAP_HANDLER: 0
; COMPUTE_PGM_RSRC2:TGID_X_EN: 1
; COMPUTE_PGM_RSRC2:TGID_Y_EN: 0
; COMPUTE_PGM_RSRC2:TGID_Z_EN: 0
; COMPUTE_PGM_RSRC2:TIDIG_COMP_CNT: 0
	.type	__hip_cuid_9474236bb4ea2be4,@object ; @__hip_cuid_9474236bb4ea2be4
	.section	.bss,"aw",@nobits
	.globl	__hip_cuid_9474236bb4ea2be4
__hip_cuid_9474236bb4ea2be4:
	.byte	0                               ; 0x0
	.size	__hip_cuid_9474236bb4ea2be4, 1

	.ident	"AMD clang version 19.0.0git (https://github.com/RadeonOpenCompute/llvm-project roc-6.4.0 25133 c7fe45cf4b819c5991fe208aaa96edf142730f1d)"
	.section	".note.GNU-stack","",@progbits
	.addrsig
	.addrsig_sym __hip_cuid_9474236bb4ea2be4
	.amdgpu_metadata
---
amdhsa.kernels:
  - .args:
      - .actual_access:  read_only
        .address_space:  global
        .offset:         0
        .size:           8
        .value_kind:     global_buffer
      - .offset:         8
        .size:           8
        .value_kind:     by_value
      - .actual_access:  read_only
        .address_space:  global
        .offset:         16
        .size:           8
        .value_kind:     global_buffer
      - .actual_access:  read_only
        .address_space:  global
        .offset:         24
        .size:           8
        .value_kind:     global_buffer
      - .offset:         32
        .size:           8
        .value_kind:     by_value
      - .actual_access:  read_only
        .address_space:  global
        .offset:         40
        .size:           8
        .value_kind:     global_buffer
      - .actual_access:  read_only
        .address_space:  global
        .offset:         48
        .size:           8
        .value_kind:     global_buffer
      - .offset:         56
        .size:           4
        .value_kind:     by_value
      - .actual_access:  read_only
        .address_space:  global
        .offset:         64
        .size:           8
        .value_kind:     global_buffer
      - .actual_access:  read_only
        .address_space:  global
        .offset:         72
        .size:           8
        .value_kind:     global_buffer
      - .address_space:  global
        .offset:         80
        .size:           8
        .value_kind:     global_buffer
    .group_segment_fixed_size: 0
    .kernarg_segment_align: 8
    .kernarg_segment_size: 88
    .language:       OpenCL C
    .language_version:
      - 2
      - 0
    .max_flat_workgroup_size: 52
    .name:           fft_rtc_fwd_len130_factors_13_10_wgs_52_tpt_13_dp_ip_CI_unitstride_sbrr_R2C_dirReg
    .private_segment_fixed_size: 0
    .sgpr_count:     48
    .sgpr_spill_count: 0
    .symbol:         fft_rtc_fwd_len130_factors_13_10_wgs_52_tpt_13_dp_ip_CI_unitstride_sbrr_R2C_dirReg.kd
    .uniform_work_group_size: 1
    .uses_dynamic_stack: false
    .vgpr_count:     122
    .vgpr_spill_count: 0
    .wavefront_size: 64
amdhsa.target:   amdgcn-amd-amdhsa--gfx906
amdhsa.version:
  - 1
  - 2
...

	.end_amdgpu_metadata
